;; amdgpu-corpus repo=ROCm/rocFFT kind=compiled arch=gfx906 opt=O3
	.text
	.amdgcn_target "amdgcn-amd-amdhsa--gfx906"
	.amdhsa_code_object_version 6
	.protected	fft_rtc_back_len1452_factors_11_3_11_4_wgs_132_tpt_132_halfLds_half_op_CI_CI_unitstride_sbrr_dirReg ; -- Begin function fft_rtc_back_len1452_factors_11_3_11_4_wgs_132_tpt_132_halfLds_half_op_CI_CI_unitstride_sbrr_dirReg
	.globl	fft_rtc_back_len1452_factors_11_3_11_4_wgs_132_tpt_132_halfLds_half_op_CI_CI_unitstride_sbrr_dirReg
	.p2align	8
	.type	fft_rtc_back_len1452_factors_11_3_11_4_wgs_132_tpt_132_halfLds_half_op_CI_CI_unitstride_sbrr_dirReg,@function
fft_rtc_back_len1452_factors_11_3_11_4_wgs_132_tpt_132_halfLds_half_op_CI_CI_unitstride_sbrr_dirReg: ; @fft_rtc_back_len1452_factors_11_3_11_4_wgs_132_tpt_132_halfLds_half_op_CI_CI_unitstride_sbrr_dirReg
; %bb.0:
	s_load_dwordx4 s[12:15], s[4:5], 0x58
	s_load_dwordx4 s[8:11], s[4:5], 0x0
	;; [unrolled: 1-line block ×3, first 2 shown]
	v_mul_u32_u24_e32 v1, 0x1f1, v0
	v_mov_b32_e32 v7, 0
	v_mov_b32_e32 v5, 0
	s_waitcnt lgkmcnt(0)
	v_cmp_lt_u64_e64 s[0:1], s[10:11], 2
	v_add_u32_sdwa v9, s6, v1 dst_sel:DWORD dst_unused:UNUSED_PAD src0_sel:DWORD src1_sel:WORD_1
	v_mov_b32_e32 v10, v7
	s_and_b64 vcc, exec, s[0:1]
	v_mov_b32_e32 v6, 0
	s_cbranch_vccnz .LBB0_8
; %bb.1:
	s_load_dwordx2 s[0:1], s[4:5], 0x10
	s_add_u32 s2, s18, 8
	s_addc_u32 s3, s19, 0
	s_add_u32 s6, s16, 8
	s_addc_u32 s7, s17, 0
	v_mov_b32_e32 v5, 0
	s_waitcnt lgkmcnt(0)
	s_add_u32 s20, s0, 8
	v_mov_b32_e32 v6, 0
	v_mov_b32_e32 v1, v5
	s_addc_u32 s21, s1, 0
	s_mov_b64 s[22:23], 1
	v_mov_b32_e32 v2, v6
.LBB0_2:                                ; =>This Inner Loop Header: Depth=1
	s_load_dwordx2 s[24:25], s[20:21], 0x0
                                        ; implicit-def: $vgpr3_vgpr4
	s_waitcnt lgkmcnt(0)
	v_or_b32_e32 v8, s25, v10
	v_cmp_ne_u64_e32 vcc, 0, v[7:8]
	s_and_saveexec_b64 s[0:1], vcc
	s_xor_b64 s[26:27], exec, s[0:1]
	s_cbranch_execz .LBB0_4
; %bb.3:                                ;   in Loop: Header=BB0_2 Depth=1
	v_cvt_f32_u32_e32 v3, s24
	v_cvt_f32_u32_e32 v4, s25
	s_sub_u32 s0, 0, s24
	s_subb_u32 s1, 0, s25
	v_mac_f32_e32 v3, 0x4f800000, v4
	v_rcp_f32_e32 v3, v3
	v_mul_f32_e32 v3, 0x5f7ffffc, v3
	v_mul_f32_e32 v4, 0x2f800000, v3
	v_trunc_f32_e32 v4, v4
	v_mac_f32_e32 v3, 0xcf800000, v4
	v_cvt_u32_f32_e32 v4, v4
	v_cvt_u32_f32_e32 v3, v3
	v_mul_lo_u32 v8, s0, v4
	v_mul_hi_u32 v11, s0, v3
	v_mul_lo_u32 v13, s1, v3
	v_mul_lo_u32 v12, s0, v3
	v_add_u32_e32 v8, v11, v8
	v_add_u32_e32 v8, v8, v13
	v_mul_hi_u32 v11, v3, v12
	v_mul_lo_u32 v13, v3, v8
	v_mul_hi_u32 v15, v3, v8
	v_mul_hi_u32 v14, v4, v12
	v_mul_lo_u32 v12, v4, v12
	v_mul_hi_u32 v16, v4, v8
	v_add_co_u32_e32 v11, vcc, v11, v13
	v_addc_co_u32_e32 v13, vcc, 0, v15, vcc
	v_mul_lo_u32 v8, v4, v8
	v_add_co_u32_e32 v11, vcc, v11, v12
	v_addc_co_u32_e32 v11, vcc, v13, v14, vcc
	v_addc_co_u32_e32 v12, vcc, 0, v16, vcc
	v_add_co_u32_e32 v8, vcc, v11, v8
	v_addc_co_u32_e32 v11, vcc, 0, v12, vcc
	v_add_co_u32_e32 v3, vcc, v3, v8
	v_addc_co_u32_e32 v4, vcc, v4, v11, vcc
	v_mul_lo_u32 v8, s0, v4
	v_mul_hi_u32 v11, s0, v3
	v_mul_lo_u32 v12, s1, v3
	v_mul_lo_u32 v13, s0, v3
	v_add_u32_e32 v8, v11, v8
	v_add_u32_e32 v8, v8, v12
	v_mul_lo_u32 v14, v3, v8
	v_mul_hi_u32 v15, v3, v13
	v_mul_hi_u32 v16, v3, v8
	v_mul_hi_u32 v12, v4, v13
	v_mul_lo_u32 v13, v4, v13
	v_mul_hi_u32 v11, v4, v8
	v_add_co_u32_e32 v14, vcc, v15, v14
	v_addc_co_u32_e32 v15, vcc, 0, v16, vcc
	v_mul_lo_u32 v8, v4, v8
	v_add_co_u32_e32 v13, vcc, v14, v13
	v_addc_co_u32_e32 v12, vcc, v15, v12, vcc
	v_addc_co_u32_e32 v11, vcc, 0, v11, vcc
	v_add_co_u32_e32 v8, vcc, v12, v8
	v_addc_co_u32_e32 v11, vcc, 0, v11, vcc
	v_add_co_u32_e32 v8, vcc, v3, v8
	v_addc_co_u32_e32 v11, vcc, v4, v11, vcc
	v_mad_u64_u32 v[3:4], s[0:1], v9, v11, 0
	v_mul_hi_u32 v12, v9, v8
	v_add_co_u32_e32 v13, vcc, v12, v3
	v_addc_co_u32_e32 v14, vcc, 0, v4, vcc
	v_mad_u64_u32 v[3:4], s[0:1], v10, v8, 0
	v_mad_u64_u32 v[11:12], s[0:1], v10, v11, 0
	v_add_co_u32_e32 v3, vcc, v13, v3
	v_addc_co_u32_e32 v3, vcc, v14, v4, vcc
	v_addc_co_u32_e32 v4, vcc, 0, v12, vcc
	v_add_co_u32_e32 v8, vcc, v3, v11
	v_addc_co_u32_e32 v11, vcc, 0, v4, vcc
	v_mul_lo_u32 v12, s25, v8
	v_mul_lo_u32 v13, s24, v11
	v_mad_u64_u32 v[3:4], s[0:1], s24, v8, 0
	v_add3_u32 v4, v4, v13, v12
	v_sub_u32_e32 v12, v10, v4
	v_mov_b32_e32 v13, s25
	v_sub_co_u32_e32 v3, vcc, v9, v3
	v_subb_co_u32_e64 v12, s[0:1], v12, v13, vcc
	v_subrev_co_u32_e64 v13, s[0:1], s24, v3
	v_subbrev_co_u32_e64 v12, s[0:1], 0, v12, s[0:1]
	v_cmp_le_u32_e64 s[0:1], s25, v12
	v_cndmask_b32_e64 v14, 0, -1, s[0:1]
	v_cmp_le_u32_e64 s[0:1], s24, v13
	v_cndmask_b32_e64 v13, 0, -1, s[0:1]
	v_cmp_eq_u32_e64 s[0:1], s25, v12
	v_cndmask_b32_e64 v12, v14, v13, s[0:1]
	v_add_co_u32_e64 v13, s[0:1], 2, v8
	v_addc_co_u32_e64 v14, s[0:1], 0, v11, s[0:1]
	v_add_co_u32_e64 v15, s[0:1], 1, v8
	v_addc_co_u32_e64 v16, s[0:1], 0, v11, s[0:1]
	v_subb_co_u32_e32 v4, vcc, v10, v4, vcc
	v_cmp_ne_u32_e64 s[0:1], 0, v12
	v_cmp_le_u32_e32 vcc, s25, v4
	v_cndmask_b32_e64 v12, v16, v14, s[0:1]
	v_cndmask_b32_e64 v14, 0, -1, vcc
	v_cmp_le_u32_e32 vcc, s24, v3
	v_cndmask_b32_e64 v3, 0, -1, vcc
	v_cmp_eq_u32_e32 vcc, s25, v4
	v_cndmask_b32_e32 v3, v14, v3, vcc
	v_cmp_ne_u32_e32 vcc, 0, v3
	v_cndmask_b32_e64 v3, v15, v13, s[0:1]
	v_cndmask_b32_e32 v4, v11, v12, vcc
	v_cndmask_b32_e32 v3, v8, v3, vcc
.LBB0_4:                                ;   in Loop: Header=BB0_2 Depth=1
	s_andn2_saveexec_b64 s[0:1], s[26:27]
	s_cbranch_execz .LBB0_6
; %bb.5:                                ;   in Loop: Header=BB0_2 Depth=1
	v_cvt_f32_u32_e32 v3, s24
	s_sub_i32 s26, 0, s24
	v_rcp_iflag_f32_e32 v3, v3
	v_mul_f32_e32 v3, 0x4f7ffffe, v3
	v_cvt_u32_f32_e32 v3, v3
	v_mul_lo_u32 v4, s26, v3
	v_mul_hi_u32 v4, v3, v4
	v_add_u32_e32 v3, v3, v4
	v_mul_hi_u32 v3, v9, v3
	v_mul_lo_u32 v4, v3, s24
	v_add_u32_e32 v8, 1, v3
	v_sub_u32_e32 v4, v9, v4
	v_subrev_u32_e32 v11, s24, v4
	v_cmp_le_u32_e32 vcc, s24, v4
	v_cndmask_b32_e32 v4, v4, v11, vcc
	v_cndmask_b32_e32 v3, v3, v8, vcc
	v_add_u32_e32 v8, 1, v3
	v_cmp_le_u32_e32 vcc, s24, v4
	v_cndmask_b32_e32 v3, v3, v8, vcc
	v_mov_b32_e32 v4, v7
.LBB0_6:                                ;   in Loop: Header=BB0_2 Depth=1
	s_or_b64 exec, exec, s[0:1]
	v_mul_lo_u32 v8, v4, s24
	v_mul_lo_u32 v13, v3, s25
	v_mad_u64_u32 v[11:12], s[0:1], v3, s24, 0
	s_load_dwordx2 s[0:1], s[6:7], 0x0
	s_load_dwordx2 s[24:25], s[2:3], 0x0
	v_add3_u32 v8, v12, v13, v8
	v_sub_co_u32_e32 v9, vcc, v9, v11
	v_subb_co_u32_e32 v8, vcc, v10, v8, vcc
	s_waitcnt lgkmcnt(0)
	v_mul_lo_u32 v10, s0, v8
	v_mul_lo_u32 v11, s1, v9
	v_mad_u64_u32 v[5:6], s[0:1], s0, v9, v[5:6]
	v_mul_lo_u32 v8, s24, v8
	v_mul_lo_u32 v12, s25, v9
	v_mad_u64_u32 v[1:2], s[0:1], s24, v9, v[1:2]
	s_add_u32 s22, s22, 1
	s_addc_u32 s23, s23, 0
	s_add_u32 s2, s2, 8
	v_add3_u32 v2, v12, v2, v8
	s_addc_u32 s3, s3, 0
	v_mov_b32_e32 v8, s10
	s_add_u32 s6, s6, 8
	v_mov_b32_e32 v9, s11
	s_addc_u32 s7, s7, 0
	v_cmp_ge_u64_e32 vcc, s[22:23], v[8:9]
	s_add_u32 s20, s20, 8
	v_add3_u32 v6, v11, v6, v10
	s_addc_u32 s21, s21, 0
	s_cbranch_vccnz .LBB0_9
; %bb.7:                                ;   in Loop: Header=BB0_2 Depth=1
	v_mov_b32_e32 v10, v4
	v_mov_b32_e32 v9, v3
	s_branch .LBB0_2
.LBB0_8:
	v_mov_b32_e32 v1, v5
	v_mov_b32_e32 v3, v9
	;; [unrolled: 1-line block ×4, first 2 shown]
.LBB0_9:
	s_load_dwordx2 s[4:5], s[4:5], 0x28
	s_lshl_b64 s[6:7], s[10:11], 3
	s_add_u32 s2, s18, s6
	s_addc_u32 s3, s19, s7
                                        ; implicit-def: $sgpr10
                                        ; implicit-def: $vgpr7
	s_waitcnt lgkmcnt(0)
	v_cmp_gt_u64_e64 s[0:1], s[4:5], v[3:4]
	v_cmp_le_u64_e32 vcc, s[4:5], v[3:4]
	s_and_saveexec_b64 s[4:5], vcc
	s_xor_b64 s[4:5], exec, s[4:5]
; %bb.10:
	s_mov_b32 s10, 0x1f07c20
	v_mul_hi_u32 v5, v0, s10
	s_mov_b32 s10, 0
	v_mul_u32_u24_e32 v5, 0x84, v5
	v_sub_u32_e32 v7, v0, v5
                                        ; implicit-def: $vgpr0
                                        ; implicit-def: $vgpr5_vgpr6
; %bb.11:
	s_or_saveexec_b64 s[4:5], s[4:5]
	v_mov_b32_e32 v8, s10
                                        ; implicit-def: $vgpr24
                                        ; implicit-def: $vgpr9
                                        ; implicit-def: $vgpr23
                                        ; implicit-def: $vgpr11
                                        ; implicit-def: $vgpr22
                                        ; implicit-def: $vgpr12
                                        ; implicit-def: $vgpr20
                                        ; implicit-def: $vgpr13
                                        ; implicit-def: $vgpr18
                                        ; implicit-def: $vgpr14
                                        ; implicit-def: $vgpr21
                                        ; implicit-def: $vgpr15
                                        ; implicit-def: $vgpr25
                                        ; implicit-def: $vgpr16
                                        ; implicit-def: $vgpr27
                                        ; implicit-def: $vgpr19
                                        ; implicit-def: $vgpr29
                                        ; implicit-def: $vgpr26
                                        ; implicit-def: $vgpr30
                                        ; implicit-def: $vgpr28
	s_xor_b64 exec, exec, s[4:5]
	s_cbranch_execz .LBB0_13
; %bb.12:
	s_add_u32 s6, s16, s6
	s_addc_u32 s7, s17, s7
	s_load_dwordx2 s[6:7], s[6:7], 0x0
	s_mov_b32 s10, 0x1f07c20
	v_mul_hi_u32 v7, v0, s10
	v_lshlrev_b64 v[5:6], 2, v[5:6]
	s_waitcnt lgkmcnt(0)
	v_mul_lo_u32 v10, s7, v3
	v_mul_lo_u32 v11, s6, v4
	v_mad_u64_u32 v[8:9], s[6:7], s6, v3, 0
	v_mul_u32_u24_e32 v7, 0x84, v7
	v_sub_u32_e32 v7, v0, v7
	v_add3_u32 v9, v9, v11, v10
	v_lshlrev_b64 v[8:9], 2, v[8:9]
	v_mov_b32_e32 v0, s13
	v_add_co_u32_e32 v8, vcc, s12, v8
	v_addc_co_u32_e32 v0, vcc, v0, v9, vcc
	v_add_co_u32_e32 v5, vcc, v8, v5
	v_addc_co_u32_e32 v0, vcc, v0, v6, vcc
	v_lshlrev_b32_e32 v6, 2, v7
	v_add_co_u32_e32 v5, vcc, v5, v6
	v_addc_co_u32_e32 v6, vcc, 0, v0, vcc
	s_movk_i32 s6, 0x1000
	v_add_co_u32_e32 v17, vcc, s6, v5
	global_load_dword v9, v[5:6], off offset:528
	global_load_dword v11, v[5:6], off offset:1056
	;; [unrolled: 1-line block ×7, first 2 shown]
	v_addc_co_u32_e32 v18, vcc, 0, v6, vcc
	global_load_dword v19, v[17:18], off offset:128
	global_load_dword v26, v[17:18], off offset:656
	;; [unrolled: 1-line block ×3, first 2 shown]
	global_load_dword v8, v[5:6], off
	s_waitcnt vmcnt(10)
	v_lshrrev_b32_e32 v24, 16, v9
	s_waitcnt vmcnt(9)
	v_lshrrev_b32_e32 v23, 16, v11
	;; [unrolled: 2-line block ×10, first 2 shown]
.LBB0_13:
	s_or_b64 exec, exec, s[4:5]
	v_add_f16_e32 v0, v9, v28
	v_sub_f16_e32 v5, v24, v30
	v_mul_f16_e32 v6, 0xbbad, v0
	s_mov_b32 s4, 0xb482
	v_add_f16_e32 v17, v11, v26
	v_fma_f16 v10, v5, s4, v6
	v_sub_f16_e32 v31, v23, v29
	s_movk_i32 s4, 0x3853
	v_mul_f16_e32 v32, 0x3abb, v17
	s_waitcnt vmcnt(0)
	v_add_f16_e32 v10, v10, v8
	v_fma_f16 v33, v31, s4, v32
	v_add_f16_e32 v35, v12, v19
	v_add_f16_e32 v10, v33, v10
	s_mov_b32 s4, 0xba0c
	v_sub_f16_e32 v33, v22, v27
	v_mul_f16_e32 v34, 0xb93d, v35
	v_fma_f16 v36, v33, s4, v34
	v_add_f16_e32 v10, v36, v10
	v_add_f16_e32 v36, v13, v16
	s_movk_i32 s4, 0x3b47
	v_sub_f16_e32 v37, v20, v25
	v_mul_f16_e32 v38, 0x36a6, v36
	v_fma_f16 v39, v37, s4, v38
	v_add_f16_e32 v10, v39, v10
	v_add_f16_e32 v39, v14, v15
	s_mov_b32 s4, 0xbbeb
	v_sub_f16_e32 v40, v18, v21
	v_mul_f16_e32 v41, 0xb08e, v39
	v_fma_f16 v42, v40, s4, v41
	s_mov_b32 s18, 0xbb47b853
	v_add_f16_e32 v10, v42, v10
	s_mov_b32 s6, 0x36a63abb
	v_pk_mul_f16 v42, v5, s18 op_sel_hi:[0,1]
	s_mov_b32 s21, 0xba0cbb47
	v_pk_fma_f16 v43, v0, s6, v42 op_sel_hi:[0,1,1]
	s_mov_b32 s7, 0xb93d36a6
	v_pk_mul_f16 v44, v31, s21 op_sel_hi:[0,1]
	v_pk_add_f16 v43, v43, v8 op_sel_hi:[1,0]
	v_pk_fma_f16 v45, v17, s7, v44 op_sel_hi:[0,1,1]
	s_mov_b32 s23, 0x3482bbeb
	v_pk_add_f16 v43, v45, v43
	s_mov_b32 s10, 0xbbadb08e
	v_pk_mul_f16 v45, v33, s23 op_sel_hi:[0,1]
	v_pk_fma_f16 v46, v35, s10, v45 op_sel_hi:[0,1,1]
	s_mov_b32 s25, 0x3bebba0c
	v_pk_add_f16 v43, v46, v43
	s_mov_b32 s11, 0xb08eb93d
	v_pk_mul_f16 v46, v37, s25 op_sel_hi:[0,1]
	;; [unrolled: 5-line block ×4, first 2 shown]
	s_mov_b32 s17, 0xb08ebbad
	v_pk_fma_f16 v49, v5, s19, v48 op_sel_hi:[0,1,1]
	s_mov_b32 s22, 0x3beb3482
	v_pk_mul_f16 v50, v17, s17 op_sel_hi:[0,1]
	v_pk_add_f16 v49, v49, v8 op_sel_hi:[1,0]
	v_pk_fma_f16 v51, v31, s22, v50 op_sel_hi:[0,1,1]
	s_mov_b32 s20, 0x3abb36a6
	v_pk_add_f16 v49, v51, v49
	s_mov_b32 s26, 0xb8533b47
	v_pk_mul_f16 v51, v35, s20 op_sel_hi:[0,1]
	v_pk_fma_f16 v52, v33, s26, v51 op_sel_hi:[0,1,1]
	s_mov_b32 s24, 0xbbad3abb
	v_pk_add_f16 v49, v52, v49
	s_mov_b32 s28, 0xb482b853
	v_pk_mul_f16 v52, v36, s24 op_sel_hi:[0,1]
	v_pk_fma_f16 v53, v37, s28, v52 op_sel_hi:[0,1,1]
	s_mov_b32 s29, 0x36a6b93d
	v_pk_add_f16 v49, v53, v49
	s_mov_b32 s30, 0x3b47ba0c
	v_pk_mul_f16 v53, v39, s29 op_sel_hi:[0,1]
	v_pk_fma_f16 v54, v40, s30, v53 op_sel_hi:[0,1,1]
	v_pk_add_f16 v49, v54, v49
	v_mul_f16_e32 v54, 0xb482, v5
	v_pk_mul_f16 v55, v5, s19 op_sel_hi:[0,1]
	s_mov_b32 s13, 0xffff
	v_bfi_b32 v5, s13, v6, v48
	v_bfi_b32 v6, s13, v54, v55
	v_pk_add_f16 v5, v5, v6 neg_lo:[0,1] neg_hi:[0,1]
	v_mul_f16_e32 v6, 0x3853, v31
	v_pk_mul_f16 v54, v31, s22 op_sel_hi:[0,1]
	v_bfi_b32 v31, s13, v32, v50
	v_bfi_b32 v6, s13, v6, v54
	v_pk_add_f16 v6, v31, v6 neg_lo:[0,1] neg_hi:[0,1]
	v_pk_add_f16 v5, v5, v8 op_sel_hi:[1,0]
	v_pk_add_f16 v5, v6, v5
	v_mul_f16_e32 v6, 0xba0c, v33
	v_pk_mul_f16 v56, v33, s26 op_sel_hi:[0,1]
	v_bfi_b32 v31, s13, v34, v51
	v_bfi_b32 v6, s13, v6, v56
	v_pk_add_f16 v6, v31, v6 neg_lo:[0,1] neg_hi:[0,1]
	v_pk_add_f16 v5, v6, v5
	v_mul_f16_e32 v6, 0x3b47, v37
	v_pk_mul_f16 v37, v37, s28 op_sel_hi:[0,1]
	v_bfi_b32 v31, s13, v38, v52
	v_bfi_b32 v6, s13, v6, v37
	v_pk_add_f16 v6, v31, v6 neg_lo:[0,1] neg_hi:[0,1]
	;; [unrolled: 6-line block ×3, first 2 shown]
	v_pk_add_f16 v34, v6, v5
	v_add_f16_e32 v5, v9, v8
	v_add_f16_e32 v5, v11, v5
	;; [unrolled: 1-line block ×6, first 2 shown]
	v_sub_f16_e32 v6, v48, v55
	v_alignbit_b32 v33, v10, v49, 16
	v_add_f16_e32 v5, v16, v5
	v_sub_f16_e32 v10, v50, v54
	v_add_f16_e32 v6, v6, v8
	v_add_f16_e32 v5, v19, v5
	;; [unrolled: 1-line block ×3, first 2 shown]
	v_sub_f16_e32 v10, v51, v56
	v_add_f16_e32 v5, v26, v5
	v_add_f16_e32 v6, v10, v6
	v_sub_f16_e32 v10, v52, v37
	v_add_f16_e32 v5, v28, v5
	v_add_f16_e32 v6, v10, v6
	v_sub_f16_e32 v10, v53, v38
	v_pack_b32_f16 v31, v5, v43
	v_mad_u32_u24 v5, v7, 22, 0
	v_add_f16_e32 v6, v10, v6
	v_pk_fma_f16 v0, v0, s6, v42 op_sel_hi:[0,1,1] neg_lo:[0,0,1] neg_hi:[0,0,1]
	ds_write_b16 v5, v6 offset:16
	v_pk_fma_f16 v6, v17, s7, v44 op_sel_hi:[0,1,1] neg_lo:[0,0,1] neg_hi:[0,0,1]
	v_pk_add_f16 v0, v0, v8 op_sel_hi:[1,0]
	v_pk_add_f16 v0, v6, v0
	v_pk_fma_f16 v6, v35, s10, v45 op_sel_hi:[0,1,1] neg_lo:[0,0,1] neg_hi:[0,0,1]
	v_pk_add_f16 v0, v6, v0
	v_pk_fma_f16 v6, v36, s11, v46 op_sel_hi:[0,1,1] neg_lo:[0,0,1] neg_hi:[0,0,1]
	v_alignbit_b32 v32, v49, v43, 16
	v_pk_add_f16 v0, v6, v0
	v_pk_fma_f16 v6, v39, s16, v47 op_sel_hi:[0,1,1] neg_lo:[0,0,1] neg_hi:[0,0,1]
	ds_write_b128 v5, v[31:34]
	v_pk_add_f16 v32, v6, v0
	v_alignbit_b32 v0, v32, v32, 16
	s_movk_i32 s4, 0xffec
	ds_write_b32 v5, v0 offset:18
	v_mad_i32_i24 v0, v7, s4, v5
	s_load_dwordx2 s[2:3], s[2:3], 0x0
	s_waitcnt lgkmcnt(0)
	s_barrier
	ds_read_u16 v31, v0
	ds_read_u16 v6, v0 offset:264
	ds_read_u16 v36, v0 offset:2200
	;; [unrolled: 1-line block ×8, first 2 shown]
	s_movk_i32 s4, 0x58
	s_mov_b32 s36, 0xbbad
	s_movk_i32 s35, 0x3abb
	s_mov_b32 s34, 0xb93d
	;; [unrolled: 2-line block ×3, first 2 shown]
	v_cmp_gt_u32_e32 vcc, s4, v7
	v_lshrrev_b32_e32 v10, 16, v32
                                        ; implicit-def: $vgpr33
	s_and_saveexec_b64 s[4:5], vcc
	s_cbranch_execz .LBB0_15
; %bb.14:
	ds_read_u16 v10, v0 offset:792
	ds_read_u16 v32, v0 offset:1760
	;; [unrolled: 1-line block ×3, first 2 shown]
.LBB0_15:
	s_or_b64 exec, exec, s[4:5]
	v_add_f16_sdwa v40, v24, v8 dst_sel:DWORD dst_unused:UNUSED_PAD src0_sel:DWORD src1_sel:WORD_1
	v_add_f16_e32 v40, v23, v40
	v_add_f16_e32 v40, v22, v40
	;; [unrolled: 1-line block ×8, first 2 shown]
	v_sub_f16_e32 v9, v9, v28
	v_add_f16_e32 v40, v30, v40
	v_add_f16_e32 v24, v24, v30
	v_mul_f16_e32 v30, 0xb482, v9
	v_sub_f16_e32 v11, v11, v26
	v_fma_f16 v41, v24, s36, -v30
	v_add_f16_e32 v23, v23, v29
	v_mul_f16_e32 v29, 0x3853, v11
	v_sub_f16_e32 v12, v12, v19
	v_add_f16_sdwa v41, v41, v8 dst_sel:DWORD dst_unused:UNUSED_PAD src0_sel:DWORD src1_sel:WORD_1
	v_fma_f16 v42, v23, s35, -v29
	v_add_f16_e32 v22, v22, v27
	v_mul_f16_e32 v27, 0xba0c, v12
	v_add_f16_e32 v41, v42, v41
	v_fma_f16 v42, v22, s34, -v27
	v_sub_f16_e32 v13, v13, v16
	v_add_f16_e32 v41, v42, v41
	v_add_f16_e32 v25, v20, v25
	v_mul_f16_e32 v42, 0x3b47, v13
	v_fma_f16 v20, v25, s33, -v42
	v_sub_f16_e32 v14, v14, v15
	v_pk_mul_f16 v15, v9, s18 op_sel_hi:[0,1]
	v_add_f16_e32 v41, v20, v41
	v_add_f16_e32 v18, v18, v21
	v_pk_fma_f16 v20, v24, s6, v15 op_sel_hi:[0,1,1] neg_lo:[0,0,1] neg_hi:[0,0,1]
	v_pk_mul_f16 v21, v11, s21 op_sel_hi:[0,1]
	v_pk_add_f16 v20, v20, v8 op_sel:[0,1]
	v_pk_fma_f16 v43, v23, s7, v21 op_sel_hi:[0,1,1] neg_lo:[0,0,1] neg_hi:[0,0,1]
	v_pk_add_f16 v20, v43, v20
	v_pk_mul_f16 v43, v12, s23 op_sel_hi:[0,1]
	v_pk_fma_f16 v44, v22, s10, v43 op_sel_hi:[0,1,1] neg_lo:[0,0,1] neg_hi:[0,0,1]
	v_pk_add_f16 v20, v44, v20
	v_pk_mul_f16 v44, v13, s25 op_sel_hi:[0,1]
	;; [unrolled: 3-line block ×3, first 2 shown]
	v_pk_fma_f16 v46, v18, s16, v45 op_sel_hi:[0,1,1] neg_lo:[0,0,1] neg_hi:[0,0,1]
	v_pk_fma_f16 v15, v24, s6, v15 op_sel_hi:[0,1,1]
	v_pk_add_f16 v46, v46, v20
	v_pk_add_f16 v15, v15, v8 op_sel:[0,1]
	v_pk_fma_f16 v20, v23, s7, v21 op_sel_hi:[0,1,1]
	v_pk_add_f16 v15, v20, v15
	v_pk_fma_f16 v20, v22, s10, v43 op_sel_hi:[0,1,1]
	v_pk_add_f16 v15, v20, v15
	;; [unrolled: 2-line block ×3, first 2 shown]
	v_pk_fma_f16 v20, v18, s16, v45 op_sel_hi:[0,1,1]
	v_mul_f16_e32 v28, 0xbbad, v24
	v_pk_add_f16 v20, v20, v15
	v_pk_mul_f16 v15, v24, s12 op_sel_hi:[0,1]
	v_pk_mul_f16 v9, v9, s19 op_sel_hi:[0,1]
	v_add_f16_e32 v21, v15, v9
	v_pk_fma_f16 v24, v24, s12, v9 op_sel_hi:[0,1,1] neg_lo:[0,0,1] neg_hi:[0,0,1]
	v_pk_mul_f16 v11, v11, s22 op_sel_hi:[0,1]
	v_bfi_b32 v15, s13, v28, v15
	v_bfi_b32 v9, s13, v30, v9
	v_mul_f16_e32 v26, 0x3abb, v23
	v_pk_add_f16 v24, v24, v8 op_sel:[0,1]
	v_pk_mul_f16 v43, v23, s17 op_sel_hi:[0,1]
	v_pk_fma_f16 v23, v23, s17, v11 op_sel_hi:[0,1,1] neg_lo:[0,0,1] neg_hi:[0,0,1]
	v_pk_mul_f16 v12, v12, s26 op_sel_hi:[0,1]
	v_pk_add_f16 v9, v15, v9
	v_mul_f16_e32 v19, 0xb93d, v22
	v_add_f16_sdwa v21, v21, v8 dst_sel:DWORD dst_unused:UNUSED_PAD src0_sel:DWORD src1_sel:WORD_1
	v_add_f16_e32 v44, v43, v11
	v_pk_add_f16 v23, v23, v24
	v_pk_mul_f16 v24, v22, s20 op_sel_hi:[0,1]
	v_pk_fma_f16 v22, v22, s20, v12 op_sel_hi:[0,1,1] neg_lo:[0,0,1] neg_hi:[0,0,1]
	v_pk_add_f16 v8, v9, v8 op_sel:[0,1]
	v_bfi_b32 v9, s13, v26, v43
	v_bfi_b32 v11, s13, v29, v11
	v_add_f16_e32 v21, v44, v21
	v_add_f16_e32 v44, v24, v12
	v_pk_add_f16 v22, v22, v23
	v_pk_mul_f16 v23, v25, s24 op_sel_hi:[0,1]
	v_pk_mul_f16 v13, v13, s28 op_sel_hi:[0,1]
	v_pk_add_f16 v9, v9, v11
	v_add_f16_e32 v21, v44, v21
	v_add_f16_e32 v44, v23, v13
	v_pk_add_f16 v8, v9, v8
	v_bfi_b32 v9, s13, v19, v24
	v_bfi_b32 v11, s13, v27, v12
	v_mul_f16_e32 v16, 0x36a6, v25
	v_add_f16_e32 v21, v44, v21
	v_pk_fma_f16 v25, v25, s24, v13 op_sel_hi:[0,1,1] neg_lo:[0,0,1] neg_hi:[0,0,1]
	v_pk_mul_f16 v44, v14, s30 op_sel_hi:[0,1]
	v_pk_add_f16 v9, v9, v11
	v_pk_add_f16 v22, v25, v22
	v_pk_fma_f16 v45, v18, s29, v44 op_sel_hi:[0,1,1] neg_lo:[0,0,1] neg_hi:[0,0,1]
	v_pk_add_f16 v8, v9, v8
	v_bfi_b32 v9, s13, v16, v23
	v_bfi_b32 v11, s13, v42, v13
	v_pk_mul_f16 v25, v18, s29 op_sel_hi:[0,1]
	v_pk_add_f16 v22, v45, v22
	v_mul_f16_e32 v45, 0xb08e, v18
	v_mul_f16_e32 v14, 0xbbeb, v14
	v_pk_add_f16 v9, v9, v11
	v_fma_f16 v18, v18, s31, -v14
	v_pk_add_f16 v8, v9, v8
	v_bfi_b32 v9, s13, v45, v25
	v_bfi_b32 v11, s13, v14, v44
	v_add_f16_e32 v47, v25, v44
	v_add_f16_e32 v18, v18, v41
	v_pk_add_f16 v9, v9, v11
	v_add_f16_e32 v21, v47, v21
	v_pk_add_f16 v14, v9, v8
	v_alignbit_b32 v13, v18, v22, 16
	v_alignbit_b32 v12, v22, v46, 16
	v_pack_b32_f16 v11, v40, v46
	v_alignbit_b32 v8, v20, v20, 16
	s_waitcnt lgkmcnt(0)
	s_barrier
	ds_write_b128 v5, v[11:14]
	ds_write_b16 v5, v21 offset:16
	ds_write_b32 v5, v8 offset:18
	s_waitcnt lgkmcnt(0)
	s_barrier
	ds_read_u16 v13, v0
	ds_read_u16 v8, v0 offset:264
	ds_read_u16 v21, v0 offset:1232
	;; [unrolled: 1-line block ×8, first 2 shown]
	v_lshrrev_b32_e32 v12, 16, v20
                                        ; implicit-def: $vgpr23
	s_and_saveexec_b64 s[4:5], vcc
	s_cbranch_execz .LBB0_17
; %bb.16:
	ds_read_u16 v12, v0 offset:792
	ds_read_u16 v20, v0 offset:1760
	;; [unrolled: 1-line block ×3, first 2 shown]
.LBB0_17:
	s_or_b64 exec, exec, s[4:5]
	s_movk_i32 s4, 0x75
	v_mul_lo_u16_sdwa v14, v7, s4 dst_sel:DWORD dst_unused:UNUSED_PAD src0_sel:BYTE_0 src1_sel:DWORD
	v_sub_u16_sdwa v16, v7, v14 dst_sel:DWORD dst_unused:UNUSED_PAD src0_sel:DWORD src1_sel:BYTE_1
	v_lshrrev_b16_e32 v16, 1, v16
	v_and_b32_e32 v16, 0x7f, v16
	v_add_u16_sdwa v14, v16, v14 dst_sel:DWORD dst_unused:UNUSED_PAD src0_sel:DWORD src1_sel:BYTE_1
	v_lshrrev_b16_e32 v41, 3, v14
	v_mul_lo_u16_e32 v14, 11, v41
	v_sub_u16_e32 v14, v7, v14
	v_mov_b32_e32 v16, 1
	v_lshlrev_b32_sdwa v42, v16, v14 dst_sel:DWORD dst_unused:UNUSED_PAD src0_sel:DWORD src1_sel:BYTE_0
	v_mov_b32_e32 v16, 3
	v_lshlrev_b32_sdwa v14, v16, v14 dst_sel:DWORD dst_unused:UNUSED_PAD src0_sel:DWORD src1_sel:BYTE_0
	global_load_dwordx2 v[29:30], v14, s[8:9]
	v_add_u32_e32 v9, 0x84, v7
	s_mov_b32 s4, 0xba2f
	v_add_u32_e32 v5, 0x108, v7
	v_add_u32_e32 v40, 0x18c, v7
	s_mov_b32 s6, 0xbaee
	s_movk_i32 s7, 0x3aee
	s_waitcnt vmcnt(0)
	v_mul_f16_sdwa v16, v39, v29 dst_sel:DWORD dst_unused:UNUSED_PAD src0_sel:DWORD src1_sel:WORD_1
	v_mul_f16_sdwa v19, v38, v30 dst_sel:DWORD dst_unused:UNUSED_PAD src0_sel:DWORD src1_sel:WORD_1
	s_waitcnt lgkmcnt(2)
	v_mul_f16_sdwa v14, v15, v29 dst_sel:DWORD dst_unused:UNUSED_PAD src0_sel:DWORD src1_sel:WORD_1
	v_fma_f16 v15, v15, v29, -v16
	v_mul_f16_sdwa v16, v18, v30 dst_sel:DWORD dst_unused:UNUSED_PAD src0_sel:DWORD src1_sel:WORD_1
	v_fma_f16 v18, v18, v30, -v19
	v_mul_u32_u24_sdwa v19, v9, s4 dst_sel:DWORD dst_unused:UNUSED_PAD src0_sel:WORD_0 src1_sel:DWORD
	v_fma_f16 v16, v38, v30, v16
	v_lshrrev_b32_e32 v38, 19, v19
	v_mul_lo_u16_e32 v19, 11, v38
	v_sub_u16_e32 v19, v9, v19
	v_fma_f16 v14, v39, v29, v14
	v_lshlrev_b32_e32 v39, 1, v19
	v_lshlrev_b32_e32 v19, 3, v19
	global_load_dwordx2 v[29:30], v19, s[8:9]
	s_waitcnt vmcnt(0)
	v_mul_f16_sdwa v22, v37, v29 dst_sel:DWORD dst_unused:UNUSED_PAD src0_sel:DWORD src1_sel:WORD_1
	v_mul_f16_sdwa v25, v36, v30 dst_sel:DWORD dst_unused:UNUSED_PAD src0_sel:DWORD src1_sel:WORD_1
	;; [unrolled: 1-line block ×3, first 2 shown]
	v_fma_f16 v21, v21, v29, -v22
	v_mul_f16_sdwa v22, v24, v30 dst_sel:DWORD dst_unused:UNUSED_PAD src0_sel:DWORD src1_sel:WORD_1
	v_fma_f16 v24, v24, v30, -v25
	v_mul_u32_u24_sdwa v25, v5, s4 dst_sel:DWORD dst_unused:UNUSED_PAD src0_sel:WORD_0 src1_sel:DWORD
	v_fma_f16 v19, v37, v29, v19
	v_lshrrev_b32_e32 v37, 19, v25
	v_mul_lo_u16_e32 v25, 11, v37
	v_sub_u16_e32 v25, v5, v25
	v_lshlrev_b32_e32 v43, 1, v25
	v_lshlrev_b32_e32 v25, 3, v25
	v_fma_f16 v22, v36, v30, v22
	global_load_dwordx2 v[29:30], v25, s[8:9]
	s_waitcnt vmcnt(0)
	v_mul_f16_sdwa v25, v26, v29 dst_sel:DWORD dst_unused:UNUSED_PAD src0_sel:DWORD src1_sel:WORD_1
	v_mul_f16_sdwa v27, v34, v29 dst_sel:DWORD dst_unused:UNUSED_PAD src0_sel:DWORD src1_sel:WORD_1
	v_fma_f16 v25, v34, v29, v25
	v_fma_f16 v26, v26, v29, -v27
	v_mul_f16_sdwa v29, v35, v30 dst_sel:DWORD dst_unused:UNUSED_PAD src0_sel:DWORD src1_sel:WORD_1
	s_waitcnt lgkmcnt(0)
	v_mul_f16_sdwa v27, v28, v30 dst_sel:DWORD dst_unused:UNUSED_PAD src0_sel:DWORD src1_sel:WORD_1
	v_fma_f16 v28, v28, v30, -v29
	v_mul_u32_u24_sdwa v29, v40, s4 dst_sel:DWORD dst_unused:UNUSED_PAD src0_sel:WORD_0 src1_sel:DWORD
	v_lshrrev_b32_e32 v44, 19, v29
	v_mul_lo_u16_e32 v29, 11, v44
	v_sub_u16_e32 v40, v40, v29
	v_lshlrev_b32_e32 v29, 3, v40
	v_fma_f16 v27, v35, v30, v27
	global_load_dwordx2 v[34:35], v29, s[8:9]
	s_waitcnt vmcnt(0)
	s_barrier
	v_mul_f16_sdwa v29, v20, v34 dst_sel:DWORD dst_unused:UNUSED_PAD src0_sel:DWORD src1_sel:WORD_1
	v_fma_f16 v29, v32, v34, v29
	v_mul_f16_sdwa v30, v32, v34 dst_sel:DWORD dst_unused:UNUSED_PAD src0_sel:DWORD src1_sel:WORD_1
	v_mul_f16_sdwa v32, v33, v35 dst_sel:DWORD dst_unused:UNUSED_PAD src0_sel:DWORD src1_sel:WORD_1
	v_fma_f16 v20, v20, v34, -v30
	v_mul_f16_sdwa v30, v23, v35 dst_sel:DWORD dst_unused:UNUSED_PAD src0_sel:DWORD src1_sel:WORD_1
	v_fma_f16 v23, v23, v35, -v32
	v_add_f16_e32 v32, v31, v14
	v_fma_f16 v30, v33, v35, v30
	v_add_f16_e32 v33, v32, v16
	v_add_f16_e32 v32, v14, v16
	v_fma_f16 v31, v32, -0.5, v31
	v_sub_f16_e32 v32, v15, v18
	v_fma_f16 v34, v32, s6, v31
	v_fma_f16 v31, v32, s7, v31
	v_add_f16_e32 v32, v6, v19
	v_add_f16_e32 v45, v32, v22
	;; [unrolled: 1-line block ×3, first 2 shown]
	v_fma_f16 v6, v32, -0.5, v6
	v_sub_f16_e32 v32, v21, v24
	v_fma_f16 v46, v32, s6, v6
	v_fma_f16 v47, v32, s7, v6
	v_add_f16_e32 v6, v17, v25
	v_mul_u32_u24_e32 v32, 0x42, v41
	v_add_f16_e32 v48, v6, v27
	v_add_f16_e32 v6, v25, v27
	v_add3_u32 v32, 0, v32, v42
	v_fma_f16 v6, v6, -0.5, v17
	v_sub_f16_e32 v17, v26, v28
	ds_write_b16 v32, v33
	ds_write_b16 v32, v34 offset:22
	ds_write_b16 v32, v31 offset:44
	v_mul_u32_u24_e32 v31, 0x42, v38
	v_fma_f16 v49, v17, s6, v6
	v_fma_f16 v17, v17, s7, v6
	v_add_f16_e32 v6, v29, v30
	v_add3_u32 v33, 0, v31, v39
	v_mul_u32_u24_e32 v31, 0x42, v37
	v_fma_f16 v35, v6, -0.5, v10
	v_sub_f16_e32 v36, v20, v23
	v_add3_u32 v34, 0, v31, v43
	v_fma_f16 v6, v36, s7, v35
	ds_write_b16 v33, v45
	ds_write_b16 v33, v46 offset:22
	ds_write_b16 v33, v47 offset:44
	ds_write_b16 v34, v48
	ds_write_b16 v34, v49 offset:22
	ds_write_b16 v34, v17 offset:44
	v_mul_lo_u16_e32 v17, 33, v44
	v_lshlrev_b32_e32 v31, 1, v40
	s_and_saveexec_b64 s[4:5], vcc
	s_cbranch_execz .LBB0_19
; %bb.18:
	v_mul_f16_e32 v36, 0x3aee, v36
	v_sub_f16_e32 v35, v35, v36
	v_add_f16_e32 v10, v10, v29
	v_lshlrev_b32_e32 v36, 1, v17
	v_add_f16_e32 v10, v10, v30
	v_add3_u32 v36, 0, v31, v36
	ds_write_b16 v36, v10
	ds_write_b16 v36, v35 offset:22
	ds_write_b16 v36, v6 offset:44
.LBB0_19:
	s_or_b64 exec, exec, s[4:5]
	v_add_f16_e32 v10, v13, v15
	v_add_f16_e32 v35, v10, v18
	v_add_f16_e32 v10, v15, v18
	v_fma_f16 v10, v10, -0.5, v13
	v_sub_f16_e32 v13, v14, v16
	v_fma_f16 v36, v13, s7, v10
	v_fma_f16 v37, v13, s6, v10
	v_add_f16_e32 v10, v8, v21
	v_add_f16_e32 v38, v10, v24
	v_add_f16_e32 v10, v21, v24
	v_fma_f16 v8, v10, -0.5, v8
	v_sub_f16_e32 v10, v19, v22
	v_fma_f16 v39, v10, s7, v8
	v_fma_f16 v40, v10, s6, v8
	;; [unrolled: 7-line block ×3, first 2 shown]
	v_sub_f16_e32 v22, v29, v30
	s_waitcnt lgkmcnt(0)
	s_barrier
	v_lshl_add_u32 v19, v7, 1, 0
	ds_read_u16 v11, v0
	ds_read_u16 v15, v0 offset:264
	ds_read_u16 v13, v0 offset:528
	;; [unrolled: 1-line block ×10, first 2 shown]
	v_add_f16_e32 v8, v20, v23
	v_fma_f16 v21, v8, -0.5, v12
	v_fma_f16 v8, v22, s6, v21
	s_waitcnt lgkmcnt(0)
	s_barrier
	ds_write_b16 v32, v35
	ds_write_b16 v32, v36 offset:22
	ds_write_b16 v32, v37 offset:44
	ds_write_b16 v33, v38
	ds_write_b16 v33, v39 offset:22
	ds_write_b16 v33, v40 offset:44
	ds_write_b16 v34, v41
	ds_write_b16 v34, v25 offset:22
	ds_write_b16 v34, v26 offset:44
	s_and_saveexec_b64 s[4:5], vcc
	s_cbranch_execz .LBB0_21
; %bb.20:
	v_add_f16_e32 v12, v12, v20
	v_lshlrev_b32_e32 v17, 1, v17
	v_mul_f16_e32 v22, 0x3aee, v22
	v_add_f16_e32 v12, v12, v23
	v_add3_u32 v17, 0, v31, v17
	v_add_f16_e32 v20, v22, v21
	ds_write_b16 v17, v12
	ds_write_b16 v17, v20 offset:22
	ds_write_b16 v17, v8 offset:44
.LBB0_21:
	s_or_b64 exec, exec, s[4:5]
	s_movk_i32 s4, 0xf9
	s_waitcnt lgkmcnt(0)
	s_barrier
	ds_read_u16 v12, v0
	ds_read_u16 v17, v0 offset:264
	ds_read_u16 v20, v0 offset:528
	ds_read_u16 v23, v19 offset:792
	ds_read_u16 v34, v0 offset:1056
	ds_read_u16 v35, v0 offset:1320
	ds_read_u16 v36, v0 offset:1584
	ds_read_u16 v37, v0 offset:1848
	ds_read_u16 v38, v0 offset:2112
	ds_read_u16 v39, v0 offset:2376
	ds_read_u16 v40, v0 offset:2640
	v_mul_lo_u16_sdwa v19, v7, s4 dst_sel:DWORD dst_unused:UNUSED_PAD src0_sel:BYTE_0 src1_sel:DWORD
	v_lshrrev_b16_e32 v41, 13, v19
	v_mul_lo_u16_e32 v19, 33, v41
	v_sub_u16_e32 v42, v7, v19
	v_mov_b32_e32 v19, 10
	v_mul_u32_u24_sdwa v19, v42, v19 dst_sel:DWORD dst_unused:UNUSED_PAD src0_sel:BYTE_0 src1_sel:DWORD
	v_lshlrev_b32_e32 v43, 2, v19
	global_load_dwordx4 v[30:33], v43, s[8:9] offset:88
	s_movk_i32 s4, 0x3abb
	s_movk_i32 s19, 0x36a6
	s_mov_b32 s5, 0xb93d
	s_mov_b32 s20, 0xb08e
	s_mov_b32 s18, 0xbbad
	s_mov_b32 s6, 0xb853
	s_mov_b32 s7, 0xba0c
	s_mov_b32 s10, 0xb482
	s_mov_b32 s11, 0xbb47
	s_movk_i32 s12, 0x3beb
	s_movk_i32 s17, 0x3853
	s_mov_b32 s13, 0xbbeb
	s_movk_i32 s16, 0x3b47
	s_waitcnt vmcnt(0) lgkmcnt(9)
	v_mul_f16_sdwa v19, v17, v30 dst_sel:DWORD dst_unused:UNUSED_PAD src0_sel:DWORD src1_sel:WORD_1
	v_fma_f16 v25, v15, v30, v19
	v_mul_f16_sdwa v15, v15, v30 dst_sel:DWORD dst_unused:UNUSED_PAD src0_sel:DWORD src1_sel:WORD_1
	v_fma_f16 v26, v17, v30, -v15
	s_waitcnt lgkmcnt(8)
	v_mul_f16_sdwa v15, v20, v31 dst_sel:DWORD dst_unused:UNUSED_PAD src0_sel:DWORD src1_sel:WORD_1
	v_fma_f16 v21, v13, v31, v15
	v_mul_f16_sdwa v13, v13, v31 dst_sel:DWORD dst_unused:UNUSED_PAD src0_sel:DWORD src1_sel:WORD_1
	v_fma_f16 v22, v20, v31, -v13
	s_waitcnt lgkmcnt(7)
	;; [unrolled: 5-line block ×3, first 2 shown]
	v_mul_f16_sdwa v13, v34, v33 dst_sel:DWORD dst_unused:UNUSED_PAD src0_sel:DWORD src1_sel:WORD_1
	v_fma_f16 v13, v14, v33, v13
	v_mul_f16_sdwa v14, v14, v33 dst_sel:DWORD dst_unused:UNUSED_PAD src0_sel:DWORD src1_sel:WORD_1
	v_fma_f16 v14, v34, v33, -v14
	global_load_dwordx4 v[30:33], v43, s[8:9] offset:104
	s_waitcnt vmcnt(0) lgkmcnt(3)
	v_mul_f16_sdwa v23, v37, v32 dst_sel:DWORD dst_unused:UNUSED_PAD src0_sel:DWORD src1_sel:WORD_1
	s_waitcnt lgkmcnt(2)
	v_mul_f16_sdwa v27, v38, v33 dst_sel:DWORD dst_unused:UNUSED_PAD src0_sel:DWORD src1_sel:WORD_1
	v_fma_f16 v23, v24, v32, v23
	v_mul_f16_sdwa v24, v24, v32 dst_sel:DWORD dst_unused:UNUSED_PAD src0_sel:DWORD src1_sel:WORD_1
	v_fma_f16 v27, v28, v33, v27
	v_mul_f16_sdwa v28, v28, v33 dst_sel:DWORD dst_unused:UNUSED_PAD src0_sel:DWORD src1_sel:WORD_1
	v_fma_f16 v24, v37, v32, -v24
	v_fma_f16 v28, v38, v33, -v28
	global_load_dwordx2 v[32:33], v43, s[8:9] offset:120
	v_mul_f16_sdwa v15, v35, v30 dst_sel:DWORD dst_unused:UNUSED_PAD src0_sel:DWORD src1_sel:WORD_1
	v_fma_f16 v15, v16, v30, v15
	v_mul_f16_sdwa v16, v16, v30 dst_sel:DWORD dst_unused:UNUSED_PAD src0_sel:DWORD src1_sel:WORD_1
	v_mul_f16_sdwa v17, v36, v31 dst_sel:DWORD dst_unused:UNUSED_PAD src0_sel:DWORD src1_sel:WORD_1
	v_fma_f16 v16, v35, v30, -v16
	v_fma_f16 v17, v18, v31, v17
	v_mul_f16_sdwa v18, v18, v31 dst_sel:DWORD dst_unused:UNUSED_PAD src0_sel:DWORD src1_sel:WORD_1
	v_fma_f16 v18, v36, v31, -v18
	s_waitcnt vmcnt(0) lgkmcnt(0)
	s_barrier
	v_mul_f16_sdwa v30, v39, v32 dst_sel:DWORD dst_unused:UNUSED_PAD src0_sel:DWORD src1_sel:WORD_1
	v_fma_f16 v31, v29, v32, v30
	v_mul_f16_sdwa v29, v29, v32 dst_sel:DWORD dst_unused:UNUSED_PAD src0_sel:DWORD src1_sel:WORD_1
	v_fma_f16 v35, v39, v32, -v29
	v_mul_f16_sdwa v29, v40, v33 dst_sel:DWORD dst_unused:UNUSED_PAD src0_sel:DWORD src1_sel:WORD_1
	v_fma_f16 v39, v10, v33, v29
	v_mul_f16_sdwa v10, v10, v33 dst_sel:DWORD dst_unused:UNUSED_PAD src0_sel:DWORD src1_sel:WORD_1
	v_fma_f16 v40, v40, v33, -v10
	v_add_f16_e32 v10, v11, v25
	v_add_f16_e32 v10, v10, v21
	;; [unrolled: 1-line block ×9, first 2 shown]
	v_sub_f16_e32 v32, v26, v40
	v_add_f16_e32 v29, v10, v39
	v_add_f16_e32 v30, v25, v39
	v_mul_f16_e32 v10, 0xb853, v32
	v_sub_f16_e32 v44, v22, v35
	v_fma_f16 v33, v30, s4, v10
	v_fma_f16 v10, v30, s4, -v10
	v_add_f16_e32 v43, v21, v31
	v_mul_f16_e32 v45, 0xbb47, v44
	v_add_f16_e32 v10, v11, v10
	v_mul_f16_e32 v34, 0xba0c, v32
	v_fma_f16 v46, v43, s19, v45
	v_fma_f16 v45, v43, s19, -v45
	v_add_f16_e32 v33, v11, v33
	v_fma_f16 v36, v30, s5, v34
	v_fma_f16 v34, v30, s5, -v34
	v_add_f16_e32 v10, v45, v10
	v_mul_f16_e32 v45, 0x3beb, v44
	v_add_f16_e32 v34, v11, v34
	v_mul_f16_e32 v37, 0xb482, v32
	v_add_f16_e32 v33, v46, v33
	v_fma_f16 v46, v43, s20, v45
	v_fma_f16 v45, v43, s20, -v45
	v_add_f16_e32 v36, v11, v36
	v_fma_f16 v38, v30, s18, v37
	v_add_f16_e32 v34, v45, v34
	v_mul_f16_e32 v45, 0x3853, v44
	v_add_f16_e32 v38, v11, v38
	v_fma_f16 v37, v30, s18, -v37
	v_add_f16_e32 v36, v46, v36
	v_fma_f16 v46, v43, s4, v45
	v_add_f16_e32 v37, v11, v37
	v_add_f16_e32 v38, v46, v38
	v_fma_f16 v45, v43, s4, -v45
	v_sub_f16_e32 v46, v20, v28
	v_add_f16_e32 v37, v45, v37
	v_add_f16_e32 v45, v19, v27
	v_mul_f16_e32 v47, 0xbbeb, v46
	v_fma_f16 v48, v45, s20, v47
	v_fma_f16 v47, v45, s20, -v47
	v_add_f16_e32 v10, v47, v10
	v_mul_f16_e32 v47, 0xb853, v46
	v_add_f16_e32 v33, v48, v33
	v_fma_f16 v48, v45, s4, v47
	v_fma_f16 v47, v45, s4, -v47
	v_add_f16_e32 v34, v47, v34
	v_mul_f16_e32 v47, 0xba0c, v46
	v_add_f16_e32 v36, v48, v36
	v_fma_f16 v48, v45, s5, v47
	v_add_f16_e32 v38, v48, v38
	v_fma_f16 v47, v45, s5, -v47
	v_sub_f16_e32 v48, v14, v24
	v_add_f16_e32 v37, v47, v37
	v_add_f16_e32 v47, v13, v23
	v_mul_f16_e32 v49, 0xba0c, v48
	v_fma_f16 v50, v47, s5, v49
	v_fma_f16 v49, v47, s5, -v49
	v_add_f16_e32 v10, v49, v10
	v_mul_f16_e32 v49, 0xb482, v48
	v_add_f16_e32 v33, v50, v33
	v_fma_f16 v50, v47, s18, v49
	v_fma_f16 v49, v47, s18, -v49
	v_add_f16_e32 v34, v49, v34
	v_mul_f16_e32 v49, 0x3b47, v48
	v_add_f16_e32 v36, v50, v36
	v_fma_f16 v50, v47, s19, v49
	v_add_f16_e32 v38, v50, v38
	v_fma_f16 v49, v47, s19, -v49
	v_sub_f16_e32 v50, v16, v18
	v_add_f16_e32 v37, v49, v37
	v_add_f16_e32 v49, v15, v17
	v_mul_f16_e32 v51, 0xb482, v50
	s_mov_b32 s5, 0xbb47bbeb
	v_fma_f16 v52, v49, s18, v51
	v_fma_f16 v51, v49, s18, -v51
	s_mov_b32 s4, 0x36a6b08e
	v_pk_mul_f16 v32, v32, s5 op_sel_hi:[0,1]
	v_add_f16_e32 v10, v51, v10
	v_pk_fma_f16 v51, v30, s4, v32 op_sel_hi:[0,1,1]
	v_pk_fma_f16 v30, v30, s4, v32 op_sel_hi:[0,1,1] neg_lo:[0,0,1] neg_hi:[0,0,1]
	s_mov_b32 s5, 0xba0c3482
	v_add_f16_e32 v33, v52, v33
	v_add_f16_sdwa v52, v11, v51 dst_sel:DWORD dst_unused:UNUSED_PAD src0_sel:DWORD src1_sel:WORD_1
	v_add_f16_e32 v51, v11, v51
	v_pk_add_f16 v11, v11, v30 op_sel_hi:[0,1]
	s_mov_b32 s4, 0xb93dbbad
	v_pk_mul_f16 v30, v44, s5 op_sel_hi:[0,1]
	v_pk_fma_f16 v32, v43, s4, v30 op_sel_hi:[0,1,1]
	v_pk_fma_f16 v30, v43, s4, v30 op_sel_hi:[0,1,1] neg_lo:[0,0,1] neg_hi:[0,0,1]
	s_mov_b32 s5, 0x34823b47
	v_pk_add_f16 v11, v30, v11
	s_mov_b32 s4, 0xbbad36a6
	v_pk_mul_f16 v30, v46, s5 op_sel_hi:[0,1]
	v_pk_fma_f16 v43, v45, s4, v30 op_sel_hi:[0,1,1]
	v_pk_fma_f16 v30, v45, s4, v30 op_sel_hi:[0,1,1] neg_lo:[0,0,1] neg_hi:[0,0,1]
	s_mov_b32 s5, 0x3bebb853
	v_add_f16_sdwa v44, v32, v52 dst_sel:DWORD dst_unused:UNUSED_PAD src0_sel:WORD_1 src1_sel:DWORD
	v_add_f16_e32 v32, v32, v51
	v_pk_add_f16 v11, v30, v11
	s_mov_b32 s4, 0xb08e3abb
	v_pk_mul_f16 v30, v48, s5 op_sel_hi:[0,1]
	v_add_f16_sdwa v44, v43, v44 dst_sel:DWORD dst_unused:UNUSED_PAD src0_sel:WORD_1 src1_sel:DWORD
	v_add_f16_e32 v32, v43, v32
	v_pk_fma_f16 v43, v47, s4, v30 op_sel_hi:[0,1,1]
	v_pk_fma_f16 v30, v47, s4, v30 op_sel_hi:[0,1,1] neg_lo:[0,0,1] neg_hi:[0,0,1]
	s_mov_b32 s5, 0x3853ba0c
	v_pk_add_f16 v11, v30, v11
	s_mov_b32 s4, 0x3abbb93d
	v_pk_mul_f16 v30, v50, s5 op_sel_hi:[0,1]
	v_add_f16_sdwa v44, v43, v44 dst_sel:DWORD dst_unused:UNUSED_PAD src0_sel:WORD_1 src1_sel:DWORD
	v_add_f16_e32 v32, v43, v32
	v_pk_fma_f16 v43, v49, s4, v30 op_sel_hi:[0,1,1]
	v_pk_fma_f16 v30, v49, s4, v30 op_sel_hi:[0,1,1] neg_lo:[0,0,1] neg_hi:[0,0,1]
	v_pk_add_f16 v11, v30, v11
	v_mul_f16_e32 v30, 0x3b47, v50
	v_add_f16_sdwa v44, v43, v44 dst_sel:DWORD dst_unused:UNUSED_PAD src0_sel:WORD_1 src1_sel:DWORD
	v_add_f16_e32 v32, v43, v32
	v_fma_f16 v43, v49, s19, v30
	v_fma_f16 v30, v49, s19, -v30
	v_add_f16_e32 v30, v30, v34
	v_mul_f16_e32 v34, 0xbbeb, v50
	v_add_f16_e32 v36, v43, v36
	v_fma_f16 v43, v49, s20, v34
	v_fma_f16 v34, v49, s20, -v34
	v_add_f16_e32 v34, v34, v37
	v_mul_u32_u24_e32 v37, 0x2d6, v41
	v_mov_b32_e32 v41, 1
	v_lshlrev_b32_sdwa v41, v41, v42 dst_sel:DWORD dst_unused:UNUSED_PAD src0_sel:DWORD src1_sel:BYTE_0
	v_add_f16_e32 v38, v43, v38
	v_add3_u32 v41, 0, v37, v41
	ds_write_b16 v41, v29
	ds_write_b16 v41, v33 offset:66
	ds_write_b16 v41, v44 offset:132
	;; [unrolled: 1-line block ×8, first 2 shown]
	ds_write_b16_d16_hi v41, v11 offset:594
	ds_write_b16 v41, v10 offset:660
	s_waitcnt lgkmcnt(0)
	s_barrier
	ds_read_u16 v29, v0
	ds_read_u16 v32, v0 offset:726
	ds_read_u16 v34, v0 offset:1452
	;; [unrolled: 1-line block ×7, first 2 shown]
	s_movk_i32 s4, 0x63
	v_cmp_gt_u32_e32 vcc, s4, v7
	s_and_saveexec_b64 s[4:5], vcc
	s_cbranch_execz .LBB0_23
; %bb.22:
	ds_read_u16 v11, v0 offset:528
	ds_read_u16 v42, v0 offset:1254
	;; [unrolled: 1-line block ×4, first 2 shown]
	s_mov_b32 s18, 0x5040100
	s_waitcnt lgkmcnt(2)
	v_perm_b32 v11, v42, v11, s18
.LBB0_23:
	s_or_b64 exec, exec, s[4:5]
	v_add_f16_e32 v42, v12, v26
	v_add_f16_e32 v42, v42, v22
	;; [unrolled: 1-line block ×10, first 2 shown]
	v_sub_f16_e32 v25, v25, v39
	v_mul_f16_e32 v39, 0x36a6, v26
	v_add_f16_e32 v22, v22, v35
	v_add_f16_e32 v42, v42, v40
	v_fma_f16 v40, v25, s16, v39
	v_fma_f16 v39, v25, s11, v39
	s_movk_i32 s4, 0x3a0c
	v_sub_f16_e32 v21, v21, v31
	v_mul_f16_e32 v31, 0xb93d, v22
	v_add_f16_e32 v20, v20, v28
	v_add_f16_e32 v39, v12, v39
	v_mul_f16_e32 v43, 0xb93d, v26
	s_movk_i32 s5, 0x3482
	v_fma_f16 v35, v21, s4, v31
	v_fma_f16 v31, v21, s7, v31
	v_sub_f16_e32 v19, v19, v27
	v_mul_f16_e32 v27, 0xbbad, v20
	v_add_f16_e32 v40, v12, v40
	v_fma_f16 v44, v25, s4, v43
	v_fma_f16 v43, v25, s7, v43
	v_add_f16_e32 v31, v31, v39
	v_mul_f16_e32 v39, 0xb08e, v22
	v_fma_f16 v28, v19, s10, v27
	v_fma_f16 v27, v19, s5, v27
	v_add_f16_e32 v43, v12, v43
	v_add_f16_e32 v35, v35, v40
	v_fma_f16 v40, v21, s13, v39
	v_fma_f16 v39, v21, s12, v39
	v_add_f16_e32 v27, v27, v31
	v_mul_f16_e32 v31, 0x3abb, v20
	v_add_f16_e32 v14, v14, v24
	v_add_f16_e32 v44, v12, v44
	;; [unrolled: 1-line block ×4, first 2 shown]
	v_fma_f16 v35, v19, s17, v31
	v_fma_f16 v31, v19, s6, v31
	v_sub_f16_e32 v23, v13, v23
	v_mul_f16_e32 v13, 0xb08e, v14
	v_add_f16_e32 v16, v16, v18
	v_add_f16_e32 v40, v40, v44
	;; [unrolled: 1-line block ×3, first 2 shown]
	v_mul_f16_e32 v39, 0xb93d, v20
	v_fma_f16 v24, v23, s13, v13
	v_fma_f16 v13, v23, s12, v13
	v_sub_f16_e32 v15, v15, v17
	v_mul_f16_e32 v17, 0x3abb, v16
	v_add_f16_e32 v35, v35, v40
	v_fma_f16 v40, v19, s4, v39
	v_add_f16_e32 v13, v13, v27
	v_fma_f16 v18, v15, s6, v17
	v_fma_f16 v17, v15, s17, v17
	s_mov_b32 s4, 0x3abbb08e
	v_mul_f16_e32 v45, 0xbbad, v26
	v_add_f16_e32 v24, v24, v28
	v_add_f16_e32 v13, v17, v13
	v_pk_mul_f16 v17, v26, s4 op_sel_hi:[0,1]
	s_mov_b32 s4, 0xb853bbeb
	v_fma_f16 v46, v25, s5, v45
	v_fma_f16 v45, v25, s10, v45
	v_add_f16_e32 v18, v18, v24
	v_pk_fma_f16 v24, v25, s4, v17 op_sel_hi:[0,1,1] neg_lo:[1,0,0] neg_hi:[1,0,0]
	v_pk_fma_f16 v17, v25, s4, v17 op_sel_hi:[0,1,1]
	s_mov_b32 s4, 0x36a6bbad
	v_add_f16_e32 v46, v12, v46
	v_add_f16_e32 v45, v12, v45
	v_add_f16_sdwa v26, v12, v24 dst_sel:DWORD dst_unused:UNUSED_PAD src0_sel:DWORD src1_sel:WORD_1
	v_add_f16_e32 v24, v12, v24
	v_pk_add_f16 v12, v12, v17 op_sel_hi:[0,1]
	v_pk_mul_f16 v17, v22, s4 op_sel_hi:[0,1]
	s_mov_b32 s4, 0xbb473482
	v_mul_f16_e32 v43, 0x3abb, v22
	v_pk_fma_f16 v22, v21, s4, v17 op_sel_hi:[0,1,1] neg_lo:[1,0,0] neg_hi:[1,0,0]
	v_pk_fma_f16 v17, v21, s4, v17 op_sel_hi:[0,1,1]
	s_mov_b32 s4, 0xb08e36a6
	v_mul_f16_e32 v27, 0xbbad, v14
	v_pk_add_f16 v12, v17, v12
	v_pk_mul_f16 v17, v20, s4 op_sel_hi:[0,1]
	s_mov_b32 s4, 0xbbeb3b47
	v_fma_f16 v28, v23, s5, v27
	v_fma_f16 v27, v23, s10, v27
	v_pk_fma_f16 v20, v19, s4, v17 op_sel_hi:[0,1,1] neg_lo:[1,0,0] neg_hi:[1,0,0]
	v_pk_fma_f16 v17, v19, s4, v17 op_sel_hi:[0,1,1]
	s_mov_b32 s4, 0xb93d3abb
	v_add_f16_e32 v27, v27, v31
	v_mul_f16_e32 v31, 0x36a6, v14
	v_pk_mul_f16 v14, v14, s4 op_sel_hi:[0,1]
	s_mov_b32 s4, 0xba0cb853
	v_add_f16_sdwa v25, v22, v26 dst_sel:DWORD dst_unused:UNUSED_PAD src0_sel:WORD_1 src1_sel:DWORD
	v_add_f16_e32 v22, v22, v24
	v_pk_add_f16 v12, v17, v12
	v_pk_fma_f16 v17, v23, s4, v14 op_sel_hi:[0,1,1] neg_lo:[1,0,0] neg_hi:[1,0,0]
	v_pk_fma_f16 v14, v23, s4, v14 op_sel_hi:[0,1,1]
	s_mov_b32 s4, 0xbbadb93d
	v_fma_f16 v44, v21, s6, v43
	v_fma_f16 v43, v21, s17, v43
	v_add_f16_sdwa v21, v20, v25 dst_sel:DWORD dst_unused:UNUSED_PAD src0_sel:WORD_1 src1_sel:DWORD
	v_add_f16_e32 v20, v20, v22
	v_pk_add_f16 v12, v14, v12
	v_pk_mul_f16 v14, v16, s4 op_sel_hi:[0,1]
	s_mov_b32 s4, 0xb482ba0c
	v_fma_f16 v39, v19, s7, v39
	v_add_f16_sdwa v19, v17, v21 dst_sel:DWORD dst_unused:UNUSED_PAD src0_sel:WORD_1 src1_sel:DWORD
	v_add_f16_e32 v17, v17, v20
	v_pk_fma_f16 v20, v15, s4, v14 op_sel_hi:[0,1,1] neg_lo:[1,0,0] neg_hi:[1,0,0]
	v_pk_fma_f16 v14, v15, s4, v14 op_sel_hi:[0,1,1]
	v_add_f16_e32 v44, v44, v46
	v_add_f16_e32 v43, v43, v45
	v_pk_add_f16 v12, v14, v12
	v_mul_f16_e32 v14, 0x36a6, v16
	v_add_f16_e32 v40, v40, v44
	v_add_f16_e32 v39, v39, v43
	;; [unrolled: 1-line block ×3, first 2 shown]
	v_fma_f16 v35, v23, s11, v31
	v_fma_f16 v31, v23, s16, v31
	v_add_f16_sdwa v19, v20, v19 dst_sel:DWORD dst_unused:UNUSED_PAD src0_sel:WORD_1 src1_sel:DWORD
	v_add_f16_e32 v17, v20, v17
	v_fma_f16 v20, v15, s11, v14
	v_fma_f16 v14, v15, s16, v14
	v_mul_f16_e32 v16, 0xb08e, v16
	v_add_f16_e32 v35, v35, v40
	v_add_f16_e32 v31, v31, v39
	;; [unrolled: 1-line block ×3, first 2 shown]
	v_fma_f16 v21, v15, s12, v16
	v_fma_f16 v15, v15, s13, v16
	v_add_f16_e32 v20, v20, v28
	v_add_f16_e32 v21, v21, v35
	;; [unrolled: 1-line block ×3, first 2 shown]
	s_waitcnt lgkmcnt(0)
	s_barrier
	ds_write_b16 v41, v42
	ds_write_b16 v41, v19 offset:66
	ds_write_b16 v41, v18 offset:132
	;; [unrolled: 1-line block ×9, first 2 shown]
	v_lshrrev_b32_e32 v14, 16, v12
	ds_write_b16 v41, v14 offset:660
	s_waitcnt lgkmcnt(0)
	s_barrier
	ds_read_u16 v15, v0
	ds_read_u16 v21, v0 offset:2442
	ds_read_u16 v19, v0 offset:2178
	;; [unrolled: 1-line block ×7, first 2 shown]
	s_and_saveexec_b64 s[4:5], vcc
	s_cbranch_execz .LBB0_25
; %bb.24:
	ds_read_u16 v12, v0 offset:528
	ds_read_u16 v13, v0 offset:1254
	;; [unrolled: 1-line block ×4, first 2 shown]
.LBB0_25:
	s_or_b64 exec, exec, s[4:5]
	s_and_saveexec_b64 s[4:5], s[0:1]
	s_cbranch_execz .LBB0_28
; %bb.26:
	v_mul_u32_u24_e32 v0, 3, v9
	v_lshlrev_b32_e32 v0, 2, v0
	global_load_dwordx3 v[23:25], v0, s[8:9] offset:1408
	v_mul_u32_u24_e32 v0, 3, v7
	v_lshlrev_b32_e32 v0, 2, v0
	global_load_dwordx3 v[26:28], v0, s[8:9] offset:1408
	v_mul_lo_u32 v9, s3, v3
	v_mul_lo_u32 v31, s2, v4
	v_mad_u64_u32 v[3:4], s[0:1], s2, v3, 0
	s_mov_b32 s2, 0x691473a9
	v_mul_hi_u32 v35, v7, s2
	v_add3_u32 v4, v4, v31, v9
	v_lshlrev_b64 v[0:1], 2, v[1:2]
	v_lshlrev_b64 v[2:3], 2, v[3:4]
	v_sub_u32_e32 v9, v7, v35
	v_mov_b32_e32 v39, s15
	v_lshrrev_b32_e32 v4, 1, v9
	v_add_co_u32_e64 v2, s[0:1], s14, v2
	v_add_u32_e32 v4, v4, v35
	v_addc_co_u32_e64 v3, s[0:1], v39, v3, s[0:1]
	v_lshrrev_b32_e32 v31, 8, v4
	v_add_co_u32_e64 v4, s[0:1], v2, v0
	v_addc_co_u32_e64 v9, s[0:1], v3, v1, s[0:1]
	v_mul_u32_u24_e32 v0, 0x16b, v31
	v_sub_u32_e32 v0, v7, v0
	v_lshlrev_b32_e32 v0, 2, v0
	s_movk_i32 s3, 0x16b
	s_waitcnt vmcnt(1)
	v_lshrrev_b32_e32 v1, 16, v24
	v_mul_f16_e32 v2, v37, v24
	v_mul_f16_sdwa v3, v36, v23 dst_sel:DWORD dst_unused:UNUSED_PAD src0_sel:DWORD src1_sel:WORD_1
	v_mul_f16_sdwa v31, v38, v25 dst_sel:DWORD dst_unused:UNUSED_PAD src0_sel:DWORD src1_sel:WORD_1
	s_waitcnt vmcnt(0)
	v_lshrrev_b32_e32 v40, 16, v27
	s_waitcnt lgkmcnt(2)
	v_mul_f16_sdwa v35, v22, v23 dst_sel:DWORD dst_unused:UNUSED_PAD src0_sel:DWORD src1_sel:WORD_1
	v_mul_f16_sdwa v39, v21, v25 dst_sel:DWORD dst_unused:UNUSED_PAD src0_sel:DWORD src1_sel:WORD_1
	v_mul_f16_e32 v41, v34, v27
	v_mul_f16_sdwa v42, v32, v26 dst_sel:DWORD dst_unused:UNUSED_PAD src0_sel:DWORD src1_sel:WORD_1
	v_mul_f16_sdwa v43, v33, v28 dst_sel:DWORD dst_unused:UNUSED_PAD src0_sel:DWORD src1_sel:WORD_1
	s_waitcnt lgkmcnt(1)
	v_mul_f16_sdwa v44, v20, v26 dst_sel:DWORD dst_unused:UNUSED_PAD src0_sel:DWORD src1_sel:WORD_1
	v_mul_f16_sdwa v45, v19, v28 dst_sel:DWORD dst_unused:UNUSED_PAD src0_sel:DWORD src1_sel:WORD_1
	v_fma_f16 v2, v18, v1, v2
	v_fma_f16 v3, v22, v23, -v3
	v_fma_f16 v21, v21, v25, -v31
	v_mul_f16_e32 v1, v37, v1
	v_mul_f16_e32 v31, v34, v40
	v_fma_f16 v22, v36, v23, v35
	v_fma_f16 v23, v38, v25, v39
	;; [unrolled: 1-line block ×3, first 2 shown]
	v_fma_f16 v20, v20, v26, -v42
	v_fma_f16 v19, v19, v28, -v43
	v_fma_f16 v26, v32, v26, v44
	v_fma_f16 v28, v33, v28, v45
	v_sub_f16_e32 v2, v30, v2
	v_sub_f16_e32 v21, v3, v21
	v_fma_f16 v1, v18, v24, -v1
	v_fma_f16 v17, v17, v27, -v31
	v_sub_f16_e32 v18, v22, v23
	v_sub_f16_e32 v23, v29, v25
	v_sub_f16_e32 v19, v20, v19
	v_sub_f16_e32 v24, v26, v28
	v_add_f16_e32 v25, v2, v21
	s_waitcnt lgkmcnt(0)
	v_sub_f16_e32 v1, v16, v1
	v_sub_f16_e32 v17, v15, v17
	v_fma_f16 v27, v30, 2.0, -v2
	v_fma_f16 v3, v3, 2.0, -v21
	v_add_f16_e32 v21, v23, v19
	v_fma_f16 v28, v29, 2.0, -v23
	v_fma_f16 v26, v26, 2.0, -v24
	;; [unrolled: 1-line block ×7, first 2 shown]
	v_sub_f16_e32 v23, v17, v24
	v_sub_f16_e32 v24, v28, v26
	;; [unrolled: 1-line block ×4, first 2 shown]
	v_fma_f16 v28, v28, 2.0, -v24
	v_fma_f16 v30, v2, 2.0, -v29
	;; [unrolled: 1-line block ×3, first 2 shown]
	v_add_co_u32_e64 v2, s[0:1], v4, v0
	v_fma_f16 v17, v17, 2.0, -v23
	v_addc_co_u32_e64 v3, s[0:1], 0, v9, s[0:1]
	v_pack_b32_f16 v0, v28, v15
	v_add_u32_e32 v15, 0x84, v7
	global_store_dword v[2:3], v0, off
	v_pack_b32_f16 v0, v16, v17
	v_mul_hi_u32 v16, v15, s2
	global_store_dword v[2:3], v0, off offset:1452
	v_pack_b32_f16 v0, v24, v19
	s_movk_i32 s0, 0x1000
	global_store_dword v[2:3], v0, off offset:2904
	v_add_co_u32_e64 v2, s[0:1], s0, v2
	v_pack_b32_f16 v0, v21, v23
	v_addc_co_u32_e64 v3, s[0:1], 0, v3, s[0:1]
	global_store_dword v[2:3], v0, off offset:260
	v_sub_u32_e32 v0, v15, v16
	v_lshrrev_b32_e32 v0, 1, v0
	v_add_u32_e32 v0, v0, v16
	v_lshrrev_b32_e32 v0, 8, v0
	v_mul_u32_u24_e32 v2, 0x16b, v0
	v_fma_f16 v22, v22, 2.0, -v18
	v_sub_f16_e32 v18, v1, v18
	v_sub_u32_e32 v2, v15, v2
	s_movk_i32 s0, 0x5ac
	v_fma_f16 v26, v1, 2.0, -v18
	v_mov_b32_e32 v1, 0
	v_mad_u32_u24 v0, v0, s0, v2
	v_lshlrev_b64 v[2:3], 2, v[0:1]
	v_sub_f16_e32 v22, v27, v22
	v_fma_f16 v27, v27, 2.0, -v22
	v_add_co_u32_e64 v2, s[0:1], v4, v2
	v_addc_co_u32_e64 v3, s[0:1], v9, v3, s[0:1]
	v_pack_b32_f16 v15, v27, v30
	global_store_dword v[2:3], v15, off
	v_add_u32_e32 v2, 0x16b, v0
	v_mov_b32_e32 v3, v1
	v_lshlrev_b64 v[2:3], 2, v[2:3]
	v_pack_b32_f16 v15, v20, v26
	v_add_co_u32_e64 v2, s[0:1], v4, v2
	v_addc_co_u32_e64 v3, s[0:1], v9, v3, s[0:1]
	global_store_dword v[2:3], v15, off
	v_add_u32_e32 v2, 0x2d6, v0
	v_mov_b32_e32 v3, v1
	v_lshlrev_b64 v[2:3], 2, v[2:3]
	v_pack_b32_f16 v15, v22, v29
	v_add_co_u32_e64 v2, s[0:1], v4, v2
	v_addc_co_u32_e64 v3, s[0:1], v9, v3, s[0:1]
	v_add_u32_e32 v0, 0x441, v0
	global_store_dword v[2:3], v15, off
	v_lshlrev_b64 v[2:3], 2, v[0:1]
	v_pack_b32_f16 v0, v25, v18
	v_add_co_u32_e64 v2, s[0:1], v4, v2
	v_addc_co_u32_e64 v3, s[0:1], v9, v3, s[0:1]
	global_store_dword v[2:3], v0, off
	v_add_u32_e32 v2, 0x108, v7
	v_cmp_gt_u32_e64 s[0:1], s3, v2
	s_and_b64 exec, exec, s[0:1]
	s_cbranch_execz .LBB0_28
; %bb.27:
	v_add_u32_e32 v0, 0xffffff9d, v7
	v_cndmask_b32_e32 v0, v0, v5, vcc
	v_mul_i32_i24_e32 v0, 3, v0
	v_lshlrev_b64 v[15:16], 2, v[0:1]
	v_mov_b32_e32 v0, s9
	v_add_co_u32_e32 v15, vcc, s8, v15
	v_addc_co_u32_e32 v16, vcc, v0, v16, vcc
	global_load_dwordx3 v[15:17], v[15:16], off offset:1408
	v_mov_b32_e32 v3, v1
	v_lshlrev_b64 v[2:3], 2, v[2:3]
	v_add_u32_e32 v0, 0x273, v7
	v_add_co_u32_e32 v2, vcc, v4, v2
	v_lshlrev_b64 v[18:19], 2, v[0:1]
	v_addc_co_u32_e32 v3, vcc, v9, v3, vcc
	v_add_u32_e32 v0, 0x3de, v7
	v_lshlrev_b64 v[20:21], 2, v[0:1]
	v_add_co_u32_e32 v18, vcc, v4, v18
	v_add_u32_e32 v0, 0x549, v7
	v_addc_co_u32_e32 v19, vcc, v9, v19, vcc
	v_lshlrev_b64 v[0:1], 2, v[0:1]
	v_add_co_u32_e32 v20, vcc, v4, v20
	v_addc_co_u32_e32 v21, vcc, v9, v21, vcc
	v_lshrrev_b32_e32 v5, 16, v11
	v_add_co_u32_e32 v0, vcc, v4, v0
	v_addc_co_u32_e32 v1, vcc, v9, v1, vcc
	s_waitcnt vmcnt(0)
	v_mul_f16_sdwa v4, v13, v15 dst_sel:DWORD dst_unused:UNUSED_PAD src0_sel:DWORD src1_sel:WORD_1
	v_mul_f16_sdwa v7, v5, v15 dst_sel:DWORD dst_unused:UNUSED_PAD src0_sel:DWORD src1_sel:WORD_1
	;; [unrolled: 1-line block ×6, first 2 shown]
	v_fma_f16 v4, v5, v15, v4
	v_fma_f16 v5, v13, v15, -v7
	v_fma_f16 v7, v10, v16, v9
	v_fma_f16 v9, v14, v16, -v22
	;; [unrolled: 2-line block ×3, first 2 shown]
	v_sub_f16_e32 v7, v11, v7
	v_sub_f16_e32 v9, v12, v9
	;; [unrolled: 1-line block ×4, first 2 shown]
	v_fma_f16 v10, v11, 2.0, -v7
	v_fma_f16 v11, v12, 2.0, -v9
	;; [unrolled: 1-line block ×4, first 2 shown]
	v_add_f16_e32 v8, v7, v8
	v_sub_f16_e32 v6, v9, v6
	v_sub_f16_e32 v4, v10, v4
	v_sub_f16_e32 v5, v11, v5
	v_fma_f16 v7, v7, 2.0, -v8
	v_fma_f16 v9, v9, 2.0, -v6
	v_pack_b32_f16 v6, v8, v6
	v_fma_f16 v8, v10, 2.0, -v4
	v_fma_f16 v10, v11, 2.0, -v5
	v_pack_b32_f16 v7, v7, v9
	v_pack_b32_f16 v4, v4, v5
	;; [unrolled: 1-line block ×3, first 2 shown]
	global_store_dword v[18:19], v7, off
	global_store_dword v[20:21], v4, off
	;; [unrolled: 1-line block ×4, first 2 shown]
.LBB0_28:
	s_endpgm
	.section	.rodata,"a",@progbits
	.p2align	6, 0x0
	.amdhsa_kernel fft_rtc_back_len1452_factors_11_3_11_4_wgs_132_tpt_132_halfLds_half_op_CI_CI_unitstride_sbrr_dirReg
		.amdhsa_group_segment_fixed_size 0
		.amdhsa_private_segment_fixed_size 0
		.amdhsa_kernarg_size 104
		.amdhsa_user_sgpr_count 6
		.amdhsa_user_sgpr_private_segment_buffer 1
		.amdhsa_user_sgpr_dispatch_ptr 0
		.amdhsa_user_sgpr_queue_ptr 0
		.amdhsa_user_sgpr_kernarg_segment_ptr 1
		.amdhsa_user_sgpr_dispatch_id 0
		.amdhsa_user_sgpr_flat_scratch_init 0
		.amdhsa_user_sgpr_private_segment_size 0
		.amdhsa_uses_dynamic_stack 0
		.amdhsa_system_sgpr_private_segment_wavefront_offset 0
		.amdhsa_system_sgpr_workgroup_id_x 1
		.amdhsa_system_sgpr_workgroup_id_y 0
		.amdhsa_system_sgpr_workgroup_id_z 0
		.amdhsa_system_sgpr_workgroup_info 0
		.amdhsa_system_vgpr_workitem_id 0
		.amdhsa_next_free_vgpr 57
		.amdhsa_next_free_sgpr 37
		.amdhsa_reserve_vcc 1
		.amdhsa_reserve_flat_scratch 0
		.amdhsa_float_round_mode_32 0
		.amdhsa_float_round_mode_16_64 0
		.amdhsa_float_denorm_mode_32 3
		.amdhsa_float_denorm_mode_16_64 3
		.amdhsa_dx10_clamp 1
		.amdhsa_ieee_mode 1
		.amdhsa_fp16_overflow 0
		.amdhsa_exception_fp_ieee_invalid_op 0
		.amdhsa_exception_fp_denorm_src 0
		.amdhsa_exception_fp_ieee_div_zero 0
		.amdhsa_exception_fp_ieee_overflow 0
		.amdhsa_exception_fp_ieee_underflow 0
		.amdhsa_exception_fp_ieee_inexact 0
		.amdhsa_exception_int_div_zero 0
	.end_amdhsa_kernel
	.text
.Lfunc_end0:
	.size	fft_rtc_back_len1452_factors_11_3_11_4_wgs_132_tpt_132_halfLds_half_op_CI_CI_unitstride_sbrr_dirReg, .Lfunc_end0-fft_rtc_back_len1452_factors_11_3_11_4_wgs_132_tpt_132_halfLds_half_op_CI_CI_unitstride_sbrr_dirReg
                                        ; -- End function
	.section	.AMDGPU.csdata,"",@progbits
; Kernel info:
; codeLenInByte = 9096
; NumSgprs: 41
; NumVgprs: 57
; ScratchSize: 0
; MemoryBound: 0
; FloatMode: 240
; IeeeMode: 1
; LDSByteSize: 0 bytes/workgroup (compile time only)
; SGPRBlocks: 5
; VGPRBlocks: 14
; NumSGPRsForWavesPerEU: 41
; NumVGPRsForWavesPerEU: 57
; Occupancy: 4
; WaveLimiterHint : 1
; COMPUTE_PGM_RSRC2:SCRATCH_EN: 0
; COMPUTE_PGM_RSRC2:USER_SGPR: 6
; COMPUTE_PGM_RSRC2:TRAP_HANDLER: 0
; COMPUTE_PGM_RSRC2:TGID_X_EN: 1
; COMPUTE_PGM_RSRC2:TGID_Y_EN: 0
; COMPUTE_PGM_RSRC2:TGID_Z_EN: 0
; COMPUTE_PGM_RSRC2:TIDIG_COMP_CNT: 0
	.type	__hip_cuid_4c96cc873160bd86,@object ; @__hip_cuid_4c96cc873160bd86
	.section	.bss,"aw",@nobits
	.globl	__hip_cuid_4c96cc873160bd86
__hip_cuid_4c96cc873160bd86:
	.byte	0                               ; 0x0
	.size	__hip_cuid_4c96cc873160bd86, 1

	.ident	"AMD clang version 19.0.0git (https://github.com/RadeonOpenCompute/llvm-project roc-6.4.0 25133 c7fe45cf4b819c5991fe208aaa96edf142730f1d)"
	.section	".note.GNU-stack","",@progbits
	.addrsig
	.addrsig_sym __hip_cuid_4c96cc873160bd86
	.amdgpu_metadata
---
amdhsa.kernels:
  - .args:
      - .actual_access:  read_only
        .address_space:  global
        .offset:         0
        .size:           8
        .value_kind:     global_buffer
      - .offset:         8
        .size:           8
        .value_kind:     by_value
      - .actual_access:  read_only
        .address_space:  global
        .offset:         16
        .size:           8
        .value_kind:     global_buffer
      - .actual_access:  read_only
        .address_space:  global
        .offset:         24
        .size:           8
        .value_kind:     global_buffer
      - .actual_access:  read_only
        .address_space:  global
        .offset:         32
        .size:           8
        .value_kind:     global_buffer
      - .offset:         40
        .size:           8
        .value_kind:     by_value
      - .actual_access:  read_only
        .address_space:  global
        .offset:         48
        .size:           8
        .value_kind:     global_buffer
      - .actual_access:  read_only
        .address_space:  global
        .offset:         56
        .size:           8
        .value_kind:     global_buffer
      - .offset:         64
        .size:           4
        .value_kind:     by_value
      - .actual_access:  read_only
        .address_space:  global
        .offset:         72
        .size:           8
        .value_kind:     global_buffer
      - .actual_access:  read_only
        .address_space:  global
        .offset:         80
        .size:           8
        .value_kind:     global_buffer
      - .actual_access:  read_only
        .address_space:  global
        .offset:         88
        .size:           8
        .value_kind:     global_buffer
      - .actual_access:  write_only
        .address_space:  global
        .offset:         96
        .size:           8
        .value_kind:     global_buffer
    .group_segment_fixed_size: 0
    .kernarg_segment_align: 8
    .kernarg_segment_size: 104
    .language:       OpenCL C
    .language_version:
      - 2
      - 0
    .max_flat_workgroup_size: 132
    .name:           fft_rtc_back_len1452_factors_11_3_11_4_wgs_132_tpt_132_halfLds_half_op_CI_CI_unitstride_sbrr_dirReg
    .private_segment_fixed_size: 0
    .sgpr_count:     41
    .sgpr_spill_count: 0
    .symbol:         fft_rtc_back_len1452_factors_11_3_11_4_wgs_132_tpt_132_halfLds_half_op_CI_CI_unitstride_sbrr_dirReg.kd
    .uniform_work_group_size: 1
    .uses_dynamic_stack: false
    .vgpr_count:     57
    .vgpr_spill_count: 0
    .wavefront_size: 64
amdhsa.target:   amdgcn-amd-amdhsa--gfx906
amdhsa.version:
  - 1
  - 2
...

	.end_amdgpu_metadata
